;; amdgpu-corpus repo=ROCm/rocFFT kind=compiled arch=gfx1030 opt=O3
	.text
	.amdgcn_target "amdgcn-amd-amdhsa--gfx1030"
	.amdhsa_code_object_version 6
	.protected	fft_rtc_fwd_len81_factors_9_3_3_wgs_189_tpt_9_dim3_dp_op_CI_CI_unitstride_sbrr_dirReg ; -- Begin function fft_rtc_fwd_len81_factors_9_3_3_wgs_189_tpt_9_dim3_dp_op_CI_CI_unitstride_sbrr_dirReg
	.globl	fft_rtc_fwd_len81_factors_9_3_3_wgs_189_tpt_9_dim3_dp_op_CI_CI_unitstride_sbrr_dirReg
	.p2align	8
	.type	fft_rtc_fwd_len81_factors_9_3_3_wgs_189_tpt_9_dim3_dp_op_CI_CI_unitstride_sbrr_dirReg,@function
fft_rtc_fwd_len81_factors_9_3_3_wgs_189_tpt_9_dim3_dp_op_CI_CI_unitstride_sbrr_dirReg: ; @fft_rtc_fwd_len81_factors_9_3_3_wgs_189_tpt_9_dim3_dp_op_CI_CI_unitstride_sbrr_dirReg
; %bb.0:
	s_load_dwordx2 s[2:3], s[4:5], 0x8
	v_mul_u32_u24_e32 v1, 0x1c72, v0
	v_mov_b32_e32 v36, 0
	v_mov_b32_e32 v37, 0
	v_lshrrev_b32_e32 v1, 16, v1
	v_mad_u64_u32 v[38:39], null, s6, 21, v[1:2]
	v_mov_b32_e32 v1, v36
	v_mov_b32_e32 v39, 0
	;; [unrolled: 1-line block ×3, first 2 shown]
	s_mov_b32 s6, exec_lo
	s_waitcnt lgkmcnt(0)
	s_load_dwordx2 s[0:1], s[2:3], 0x8
	s_waitcnt lgkmcnt(0)
	v_cmpx_le_u64_e64 s[0:1], v[38:39]
	s_cbranch_execz .LBB0_2
; %bb.1:
	v_cvt_f32_u32_e32 v1, s0
	s_sub_i32 s7, 0, s0
	v_rcp_iflag_f32_e32 v1, v1
	v_mul_f32_e32 v1, 0x4f7ffffe, v1
	v_cvt_u32_f32_e32 v1, v1
	v_mul_lo_u32 v2, s7, v1
	v_mul_hi_u32 v2, v1, v2
	v_add_nc_u32_e32 v1, v1, v2
	v_mul_hi_u32 v1, v38, v1
	v_mul_lo_u32 v2, v1, s0
	v_add_nc_u32_e32 v3, 1, v1
	v_sub_nc_u32_e32 v2, v38, v2
	v_subrev_nc_u32_e32 v4, s0, v2
	v_cmp_le_u32_e32 vcc_lo, s0, v2
	v_cndmask_b32_e32 v2, v2, v4, vcc_lo
	v_cndmask_b32_e32 v1, v1, v3, vcc_lo
	v_cmp_le_u32_e32 vcc_lo, s0, v2
	v_add_nc_u32_e32 v3, 1, v1
	v_mov_b32_e32 v2, v39
	v_cndmask_b32_e32 v1, v1, v3, vcc_lo
.LBB0_2:
	s_or_b32 exec_lo, exec_lo, s6
	s_load_dwordx2 s[2:3], s[2:3], 0x10
	s_mov_b32 s6, exec_lo
	s_waitcnt lgkmcnt(0)
	v_cmpx_le_u64_e64 s[2:3], v[1:2]
	s_cbranch_execz .LBB0_4
; %bb.3:
	v_cvt_f32_u32_e32 v3, s2
	s_sub_i32 s7, 0, s2
	v_mov_b32_e32 v37, 0
	v_rcp_iflag_f32_e32 v3, v3
	v_mul_f32_e32 v3, 0x4f7ffffe, v3
	v_cvt_u32_f32_e32 v3, v3
	v_mul_lo_u32 v4, s7, v3
	v_mul_hi_u32 v4, v3, v4
	v_add_nc_u32_e32 v3, v3, v4
	v_mul_hi_u32 v3, v1, v3
	v_mul_lo_u32 v4, v3, s2
	v_add_nc_u32_e32 v5, 1, v3
	v_sub_nc_u32_e32 v4, v1, v4
	v_subrev_nc_u32_e32 v6, s2, v4
	v_cmp_le_u32_e32 vcc_lo, s2, v4
	v_cndmask_b32_e32 v4, v4, v6, vcc_lo
	v_cndmask_b32_e32 v3, v3, v5, vcc_lo
	v_cmp_le_u32_e32 vcc_lo, s2, v4
	v_add_nc_u32_e32 v5, 1, v3
	v_cndmask_b32_e32 v36, v3, v5, vcc_lo
.LBB0_4:
	s_or_b32 exec_lo, exec_lo, s6
	v_mad_u64_u32 v[3:4], null, v1, s0, 0
	v_mad_u64_u32 v[5:6], null, v36, s2, 0
	s_load_dwordx4 s[8:11], s[4:5], 0x18
	v_mad_u64_u32 v[7:8], null, v1, s1, v[4:5]
	v_sub_co_u32 v39, s1, v38, v3
	v_mad_u64_u32 v[8:9], null, v36, s3, v[6:7]
	s_load_dwordx2 s[2:3], s[4:5], 0x0
	v_mov_b32_e32 v4, v7
	s_waitcnt lgkmcnt(0)
	v_cmp_gt_u64_e32 vcc_lo, s[10:11], v[36:37]
	v_cmp_le_u64_e64 s0, s[10:11], v[36:37]
	v_mov_b32_e32 v6, v8
	v_sub_co_ci_u32_e64 v40, s1, 0, v4, s1
	v_sub_co_u32 v41, s1, v1, v5
	v_sub_co_ci_u32_e64 v42, s1, v2, v6, s1
                                        ; implicit-def: $vgpr37
	s_and_saveexec_b32 s1, s0
	s_xor_b32 s0, exec_lo, s1
; %bb.5:
	v_mov_b32_e32 v1, 0x1c72
	v_mul_u32_u24_sdwa v1, v0, v1 dst_sel:DWORD dst_unused:UNUSED_PAD src0_sel:WORD_0 src1_sel:DWORD
	v_lshrrev_b32_e32 v1, 16, v1
	v_mul_lo_u16 v1, v1, 9
	v_sub_nc_u16 v0, v0, v1
	v_and_b32_e32 v37, 0xffff, v0
                                        ; implicit-def: $vgpr0
; %bb.6:
	s_or_saveexec_b32 s1, s0
                                        ; implicit-def: $vgpr34_vgpr35
                                        ; implicit-def: $vgpr30_vgpr31
                                        ; implicit-def: $vgpr26_vgpr27
                                        ; implicit-def: $vgpr6_vgpr7
                                        ; implicit-def: $vgpr10_vgpr11
                                        ; implicit-def: $vgpr22_vgpr23
                                        ; implicit-def: $vgpr18_vgpr19
                                        ; implicit-def: $vgpr14_vgpr15
                                        ; implicit-def: $vgpr2_vgpr3
	s_xor_b32 exec_lo, exec_lo, s1
	s_cbranch_execz .LBB0_8
; %bb.7:
	s_load_dwordx2 s[6:7], s[4:5], 0x10
	v_mov_b32_e32 v1, 0x1c72
	s_waitcnt lgkmcnt(0)
	s_clause 0x1
	s_load_dwordx2 s[10:11], s[6:7], 0x18
	s_load_dwordx4 s[12:15], s[6:7], 0x8
	v_mul_u32_u24_sdwa v3, v0, v1 dst_sel:DWORD dst_unused:UNUSED_PAD src0_sel:WORD_0 src1_sel:DWORD
	s_load_dwordx2 s[6:7], s[4:5], 0x50
	v_lshrrev_b32_e32 v3, 16, v3
	v_mul_lo_u16 v7, v3, 9
	v_sub_nc_u16 v7, v0, v7
	s_waitcnt lgkmcnt(0)
	v_mad_u64_u32 v[1:2], null, s10, v36, 0
	v_mul_lo_u32 v8, s15, v41
	v_mul_lo_u32 v9, s14, v42
	;; [unrolled: 1-line block ×4, first 2 shown]
	v_mad_u64_u32 v[5:6], null, s12, v39, 0
	v_mad_u64_u32 v[2:3], null, s11, v36, v[2:3]
	;; [unrolled: 1-line block ×3, first 2 shown]
	v_and_b32_e32 v37, 0xffff, v7
	v_add3_u32 v6, v6, v11, v10
	v_lshlrev_b64 v[0:1], 4, v[1:2]
	v_add3_u32 v4, v4, v9, v8
	v_lshlrev_b64 v[2:3], 4, v[3:4]
	v_add_co_u32 v4, s0, s6, v0
	v_add_co_ci_u32_e64 v7, s0, s7, v1, s0
	v_lshlrev_b64 v[0:1], 4, v[5:6]
	v_add_co_u32 v2, s0, v4, v2
	v_add_co_ci_u32_e64 v3, s0, v7, v3, s0
	v_lshlrev_b32_e32 v4, 4, v37
	v_add_co_u32 v0, s0, v2, v0
	v_add_co_ci_u32_e64 v1, s0, v3, v1, s0
	v_add_co_u32 v32, s0, v0, v4
	v_add_co_ci_u32_e64 v33, s0, 0, v1, s0
	s_clause 0x8
	global_load_dwordx4 v[0:3], v[32:33], off
	global_load_dwordx4 v[12:15], v[32:33], off offset:144
	global_load_dwordx4 v[16:19], v[32:33], off offset:288
	;; [unrolled: 1-line block ×8, first 2 shown]
.LBB0_8:
	s_or_b32 exec_lo, exec_lo, s1
	s_waitcnt vmcnt(0)
	v_add_f64 v[43:44], v[32:33], v[12:13]
	v_add_f64 v[45:46], v[34:35], v[14:15]
	;; [unrolled: 1-line block ×6, first 2 shown]
	v_add_f64 v[12:13], v[12:13], -v[32:33]
	v_add_f64 v[14:15], v[14:15], -v[34:35]
	v_add_f64 v[59:60], v[4:5], v[8:9]
	v_add_f64 v[16:17], v[16:17], -v[28:29]
	v_add_f64 v[28:29], v[8:9], -v[4:5]
	v_add_f64 v[61:62], v[6:7], v[10:11]
	v_add_f64 v[18:19], v[18:19], -v[30:31]
	v_add_f64 v[34:35], v[10:11], -v[6:7]
	s_mov_b32 s7, 0x3fe491b7
	s_mov_b32 s6, 0x523c161c
	;; [unrolled: 1-line block ×6, first 2 shown]
	v_add_f64 v[20:21], v[20:21], -v[24:25]
	v_add_f64 v[22:23], v[22:23], -v[26:27]
	v_fma_f64 v[24:25], v[43:44], s[0:1], v[0:1]
	v_fma_f64 v[65:66], v[45:46], s[0:1], v[2:3]
	v_add_f64 v[55:56], v[47:48], v[43:44]
	v_add_f64 v[57:58], v[49:50], v[45:46]
	v_fma_f64 v[63:64], v[47:48], s[0:1], v[0:1]
	v_fma_f64 v[69:70], v[49:50], s[0:1], v[2:3]
	v_mul_f64 v[71:72], v[12:13], s[6:7]
	v_mul_f64 v[73:74], v[14:15], s[6:7]
	s_mov_b32 s7, 0xbfe491b7
	v_fma_f64 v[26:27], v[59:60], s[0:1], v[0:1]
	v_mul_f64 v[75:76], v[28:29], s[10:11]
	v_mul_f64 v[77:78], v[28:29], s[6:7]
	v_fma_f64 v[67:68], v[61:62], s[0:1], v[2:3]
	s_mov_b32 s0, 0x7e0b738b
	s_mov_b32 s1, 0x3fc63a1a
	v_mul_hi_u32 v79, 0x86186187, v38
	s_mov_b32 s12, 0x748a0bf8
	s_mov_b32 s13, 0x3fd5e3a8
	v_fma_f64 v[24:25], v[47:48], s[0:1], v[24:25]
	v_fma_f64 v[65:66], v[49:50], s[0:1], v[65:66]
	v_add_f64 v[30:31], v[51:52], v[55:56]
	v_add_f64 v[32:33], v[53:54], v[57:58]
	v_fma_f64 v[63:64], v[59:60], s[0:1], v[63:64]
	v_fma_f64 v[69:70], v[61:62], s[0:1], v[69:70]
	;; [unrolled: 1-line block ×4, first 2 shown]
	v_add_f64 v[55:56], v[59:60], v[55:56]
	v_fma_f64 v[26:27], v[43:44], s[0:1], v[26:27]
	v_fma_f64 v[75:76], v[16:17], s[6:7], -v[75:76]
	v_fma_f64 v[77:78], v[12:13], s[10:11], v[77:78]
	v_fma_f64 v[67:68], v[45:46], s[0:1], v[67:68]
	s_mov_b32 s0, 0xe8584cab
	s_mov_b32 s1, 0x3febb67a
	v_add_f64 v[57:58], v[61:62], v[57:58]
	v_sub_nc_u32_e32 v80, v38, v79
	v_fma_f64 v[24:25], v[51:52], -0.5, v[24:25]
	v_fma_f64 v[65:66], v[53:54], -0.5, v[65:66]
	v_add_f64 v[30:31], v[8:9], v[30:31]
	v_add_f64 v[10:11], v[10:11], v[32:33]
	v_mul_f64 v[8:9], v[34:35], s[10:11]
	v_mul_f64 v[32:33], v[34:35], s[6:7]
	v_fma_f64 v[63:64], v[51:52], -0.5, v[63:64]
	v_fma_f64 v[71:72], v[20:21], s[0:1], v[71:72]
	v_fma_f64 v[69:70], v[53:54], -0.5, v[69:70]
	v_fma_f64 v[26:27], v[51:52], -0.5, v[26:27]
	v_add_f64 v[51:52], v[51:52], v[0:1]
	v_fma_f64 v[75:76], v[20:21], s[0:1], v[75:76]
	v_fma_f64 v[67:68], v[53:54], -0.5, v[67:68]
	v_add_f64 v[53:54], v[53:54], v[2:3]
	v_fma_f64 v[73:74], v[22:23], s[0:1], v[73:74]
	v_add_f64 v[30:31], v[4:5], v[30:31]
	v_lshlrev_b32_e32 v4, 1, v37
	v_fma_f64 v[8:9], v[18:19], s[6:7], -v[8:9]
	v_fma_f64 v[32:33], v[14:15], s[10:11], v[32:33]
	s_mov_b32 s7, 0xbfebb67a
	s_mov_b32 s6, s0
	;; [unrolled: 1-line block ×3, first 2 shown]
	v_fma_f64 v[20:21], v[20:21], s[6:7], v[77:78]
	v_add_f64 v[77:78], v[34:35], v[14:15]
	s_mov_b32 s11, 0xbfee11f6
	v_fma_f64 v[51:52], v[55:56], -0.5, v[51:52]
	v_fma_f64 v[53:54], v[57:58], -0.5, v[53:54]
	v_fma_f64 v[57:58], v[61:62], s[10:11], v[65:66]
	v_fma_f64 v[24:25], v[59:60], s[10:11], v[24:25]
	;; [unrolled: 1-line block ×5, first 2 shown]
	v_mov_b32_e32 v5, 0
	v_fma_f64 v[8:9], v[22:23], s[0:1], v[8:9]
	v_fma_f64 v[22:23], v[22:23], s[6:7], v[32:33]
	v_add_f64 v[32:33], v[28:29], v[12:13]
	v_fma_f64 v[61:62], v[16:17], s[12:13], v[20:21]
	v_add_f64 v[55:56], v[77:78], -v[18:19]
	v_lshrrev_b32_e32 v20, 1, v80
	v_add_f64 v[12:13], v[34:35], v[24:25]
	v_fma_f64 v[73:74], v[14:15], s[12:13], v[8:9]
	v_fma_f64 v[65:66], v[18:19], s[12:13], v[22:23]
	v_add_f64 v[32:33], v[32:33], -v[16:17]
	v_fma_f64 v[16:17], v[43:44], s[10:11], v[63:64]
	v_fma_f64 v[18:19], v[45:46], s[10:11], v[69:70]
	v_add_nc_u32_e32 v8, v20, v79
	v_fma_f64 v[20:21], v[47:48], s[10:11], v[26:27]
	v_fma_f64 v[22:23], v[49:50], s[10:11], v[67:68]
	v_mul_f64 v[28:29], v[55:56], s[0:1]
	v_add_f64 v[43:44], v[6:7], v[10:11]
	v_lshrrev_b32_e32 v8, 4, v8
	v_add_f64 v[14:15], v[57:58], -v[59:60]
	v_add_nc_u32_e32 v6, 18, v37
	s_clause 0x1
	s_load_dwordx2 s[12:13], s[8:9], 0x8
	s_load_dwordx4 s[8:11], s[8:9], 0x10
	v_mul_lo_u32 v45, v8, 21
	v_fma_f64 v[8:9], v[55:56], s[0:1], v[51:52]
	v_sub_nc_u32_e32 v7, v38, v45
	v_mul_f64 v[26:27], v[32:33], s[0:1]
	v_fma_f64 v[10:11], v[32:33], s[6:7], v[53:54]
	v_add_f64 v[16:17], v[73:74], v[16:17]
	v_add_f64 v[18:19], v[18:19], -v[71:72]
	v_add_f64 v[20:21], v[65:66], v[20:21]
	v_add_f64 v[22:23], v[22:23], -v[61:62]
	v_and_b32_e32 v38, 0xff, v6
	v_mul_u32_u24_e32 v7, 0x51, v7
	v_fma_f64 v[32:33], v[34:35], -2.0, v[12:13]
	v_fma_f64 v[34:35], v[59:60], 2.0, v[14:15]
	v_fma_f64 v[24:25], v[28:29], -2.0, v[8:9]
	v_add_f64 v[28:29], v[0:1], v[30:31]
	v_add_f64 v[30:31], v[2:3], v[43:44]
	v_lshlrev_b64 v[0:1], 4, v[4:5]
	v_mul_lo_u16 v2, v38, 57
	v_lshl_add_u32 v38, v7, 4, 0
	v_fma_f64 v[26:27], v[26:27], 2.0, v[10:11]
	v_fma_f64 v[43:44], v[73:74], -2.0, v[16:17]
	v_fma_f64 v[45:46], v[71:72], 2.0, v[18:19]
	v_fma_f64 v[47:48], v[65:66], -2.0, v[20:21]
	v_fma_f64 v[49:50], v[61:62], 2.0, v[22:23]
	v_add_co_u32 v0, s0, s2, v0
	v_lshrrev_b16 v2, 9, v2
	v_mad_u32_u24 v3, 0x90, v37, v38
	v_add_co_ci_u32_e64 v1, s0, s3, v1, s0
	ds_write_b128 v3, v[8:11] offset:48
	ds_write_b128 v3, v[28:31]
	ds_write_b128 v3, v[12:15] offset:16
	ds_write_b128 v3, v[16:19] offset:64
	;; [unrolled: 1-line block ×7, first 2 shown]
	v_mul_lo_u16 v2, v2, 9
	s_waitcnt lgkmcnt(0)
	s_barrier
	buffer_gl0_inv
	global_load_dwordx4 v[7:10], v[0:1], off
	v_sub_nc_u16 v2, v6, v2
	s_mov_b32 s0, 0xe8584caa
	s_mov_b32 s6, s0
	v_and_b32_e32 v35, 0xff, v2
	v_lshlrev_b32_e32 v2, 5, v35
	s_clause 0x2
	global_load_dwordx4 v[11:14], v[0:1], off offset:16
	global_load_dwordx4 v[15:18], v2, s[2:3]
	global_load_dwordx4 v[19:22], v2, s[2:3] offset:16
	v_lshlrev_b32_e32 v2, 7, v37
	v_sub_nc_u32_e32 v2, v3, v2
	ds_read_b128 v[23:26], v2 offset:432
	ds_read_b128 v[27:30], v2 offset:576
	;; [unrolled: 1-line block ×7, first 2 shown]
	s_waitcnt vmcnt(3) lgkmcnt(6)
	v_mul_f64 v[3:4], v[25:26], v[9:10]
	v_mul_f64 v[59:60], v[23:24], v[9:10]
	s_waitcnt lgkmcnt(5)
	v_mul_f64 v[61:62], v[29:30], v[9:10]
	v_mul_f64 v[9:10], v[27:28], v[9:10]
	s_waitcnt vmcnt(2) lgkmcnt(4)
	v_mul_f64 v[63:64], v[33:34], v[13:14]
	v_mul_f64 v[65:66], v[31:32], v[13:14]
	s_waitcnt lgkmcnt(3)
	v_mul_f64 v[67:68], v[45:46], v[13:14]
	v_mul_f64 v[13:14], v[43:44], v[13:14]
	s_waitcnt vmcnt(1) lgkmcnt(2)
	v_mul_f64 v[69:70], v[49:50], v[17:18]
	v_mul_f64 v[17:18], v[47:48], v[17:18]
	s_waitcnt vmcnt(0) lgkmcnt(1)
	v_mul_f64 v[71:72], v[53:54], v[21:22]
	v_fma_f64 v[23:24], v[23:24], v[7:8], -v[3:4]
	v_mul_f64 v[3:4], v[51:52], v[21:22]
	v_fma_f64 v[25:26], v[25:26], v[7:8], v[59:60]
	v_fma_f64 v[27:28], v[27:28], v[7:8], -v[61:62]
	v_fma_f64 v[29:30], v[29:30], v[7:8], v[9:10]
	v_fma_f64 v[21:22], v[31:32], v[11:12], -v[63:64]
	;; [unrolled: 2-line block ×5, first 2 shown]
	v_fma_f64 v[17:18], v[53:54], v[19:20], v[3:4]
	v_lshl_add_u32 v3, v37, 4, v38
	ds_read_b128 v[7:10], v3
	ds_read_b128 v[11:14], v2 offset:144
	v_lshl_add_u32 v4, v35, 4, v38
	s_waitcnt lgkmcnt(0)
	s_barrier
	buffer_gl0_inv
	v_add_f64 v[19:20], v[23:24], v[21:22]
	v_add_f64 v[49:50], v[25:26], v[31:32]
	v_add_f64 v[51:52], v[27:28], v[33:34]
	v_add_f64 v[53:54], v[29:30], v[43:44]
	v_add_f64 v[77:78], v[23:24], -v[21:22]
	v_add_f64 v[79:80], v[27:28], -v[33:34]
	v_add_f64 v[59:60], v[45:46], v[47:48]
	v_add_f64 v[71:72], v[55:56], v[45:46]
	;; [unrolled: 1-line block ×4, first 2 shown]
	v_add_f64 v[81:82], v[15:16], -v[17:18]
	v_add_f64 v[63:64], v[7:8], v[23:24]
	v_add_f64 v[65:66], v[9:10], v[25:26]
	;; [unrolled: 1-line block ×4, first 2 shown]
	v_add_f64 v[25:26], v[25:26], -v[31:32]
	v_add_f64 v[29:30], v[29:30], -v[43:44]
	v_fma_f64 v[75:76], v[19:20], -0.5, v[7:8]
	v_fma_f64 v[49:50], v[49:50], -0.5, v[9:10]
	;; [unrolled: 1-line block ×5, first 2 shown]
	v_add_f64 v[59:60], v[45:46], -v[47:48]
	v_add_f64 v[15:16], v[71:72], v[47:48]
	v_add_f64 v[17:18], v[73:74], v[17:18]
	v_fma_f64 v[57:58], v[61:62], -0.5, v[57:58]
	v_add_f64 v[7:8], v[63:64], v[21:22]
	v_add_f64 v[9:10], v[65:66], v[31:32]
	;; [unrolled: 1-line block ×4, first 2 shown]
	v_fma_f64 v[19:20], v[25:26], s[0:1], v[75:76]
	v_fma_f64 v[21:22], v[77:78], s[6:7], v[49:50]
	;; [unrolled: 1-line block ×12, first 2 shown]
	ds_write_b128 v2, v[7:10]
	ds_write_b128 v2, v[11:14] offset:432
	ds_write_b128 v2, v[19:22] offset:144
	;; [unrolled: 1-line block ×8, first 2 shown]
	s_waitcnt lgkmcnt(0)
	s_barrier
	buffer_gl0_inv
	s_and_saveexec_b32 s14, vcc_lo
	s_cbranch_execz .LBB0_10
; %bb.9:
	v_lshlrev_b32_e32 v4, 1, v6
	global_load_dwordx4 v[6:9], v[0:1], off offset:288
	v_mad_u64_u32 v[67:68], null, s10, v36, 0
	v_mul_hi_u32 v75, 0x2f684bdb, v37
	v_lshlrev_b64 v[10:11], 4, v[4:5]
	v_lshl_add_u32 v4, v37, 1, 18
	v_mul_lo_u32 v71, s9, v41
	v_mul_lo_u32 v42, s8, v42
	v_mad_u64_u32 v[34:35], null, s8, v41, 0
	v_add_co_u32 v18, vcc_lo, s2, v10
	v_lshlrev_b64 v[20:21], 4, v[4:5]
	v_add_co_ci_u32_e32 v19, vcc_lo, s3, v11, vcc_lo
	v_sub_nc_u32_e32 v72, v37, v75
	s_clause 0x1
	global_load_dwordx4 v[10:13], v[0:1], off offset:304
	global_load_dwordx4 v[14:17], v[18:19], off offset:288
	v_add_co_u32 v0, vcc_lo, s2, v20
	v_add_co_ci_u32_e32 v1, vcc_lo, s3, v21, vcc_lo
	s_clause 0x2
	global_load_dwordx4 v[18:21], v[18:19], off offset:304
	global_load_dwordx4 v[22:25], v[0:1], off offset:288
	;; [unrolled: 1-line block ×3, first 2 shown]
	ds_read_b128 v[30:33], v2 offset:432
	ds_read_b128 v[43:46], v2 offset:288
	;; [unrolled: 1-line block ×4, first 2 shown]
	v_mov_b32_e32 v4, v68
	v_add_nc_u32_e32 v77, 18, v37
	v_add_nc_u32_e32 v76, 9, v37
	v_add3_u32 v35, v35, v42, v71
	v_lshrrev_b32_e32 v42, 1, v72
	v_mad_u64_u32 v[71:72], null, s11, v36, v[4:5]
	v_mul_hi_u32 v79, 0x2f684bdb, v77
	v_mul_hi_u32 v78, 0x2f684bdb, v76
	s_load_dwordx2 s[2:3], s[4:5], 0x58
	v_add_nc_u32_e32 v42, v42, v75
	v_mul_lo_u32 v73, s13, v39
	v_mul_lo_u32 v74, s12, v40
	v_mov_b32_e32 v68, v71
	v_mad_u64_u32 v[69:70], null, s12, v39, 0
	ds_read_b128 v[38:41], v2 offset:1152
	ds_read_b128 v[55:58], v2 offset:720
	;; [unrolled: 1-line block ×3, first 2 shown]
	v_sub_nc_u32_e32 v36, v77, v79
	v_sub_nc_u32_e32 v4, v76, v78
	v_lshrrev_b32_e32 v42, 4, v42
	v_lshlrev_b64 v[67:68], 4, v[67:68]
	v_lshlrev_b64 v[34:35], 4, v[34:35]
	v_lshrrev_b32_e32 v36, 1, v36
	v_lshrrev_b32_e32 v4, 1, v4
	v_mul_lo_u32 v42, v42, 27
	v_add3_u32 v70, v70, v74, v73
	ds_read_b128 v[63:66], v2 offset:144
	ds_read_b128 v[0:3], v3
	v_add_nc_u32_e32 v36, v36, v79
	v_add_nc_u32_e32 v4, v4, v78
	v_lshlrev_b64 v[69:70], 4, v[69:70]
	v_lshrrev_b32_e32 v78, 4, v36
	v_sub_nc_u32_e32 v42, v37, v42
	v_lshrrev_b32_e32 v75, 4, v4
	s_waitcnt lgkmcnt(0)
	v_add_co_u32 v4, vcc_lo, s2, v67
	v_add_co_ci_u32_e32 v79, vcc_lo, s3, v68, vcc_lo
	v_mul_lo_u32 v80, v75, 27
	v_mul_lo_u32 v81, v78, 27
	v_lshlrev_b32_e32 v42, 4, v42
	s_waitcnt vmcnt(5)
	v_mul_f64 v[71:72], v[8:9], v[32:33]
	v_mul_f64 v[32:33], v[6:7], v[32:33]
	s_waitcnt vmcnt(4)
	v_mul_f64 v[36:37], v[12:13], v[49:50]
	v_mul_f64 v[49:50], v[10:11], v[49:50]
	;; [unrolled: 3-line block ×4, first 2 shown]
	v_fma_f64 v[6:7], v[6:7], v[30:31], -v[71:72]
	v_fma_f64 v[8:9], v[30:31], v[8:9], v[32:33]
	s_waitcnt vmcnt(1)
	v_mul_f64 v[30:31], v[24:25], v[61:62]
	v_mul_f64 v[32:33], v[22:23], v[61:62]
	s_waitcnt vmcnt(0)
	v_mul_f64 v[61:62], v[26:27], v[53:54]
	v_mul_f64 v[53:54], v[28:29], v[53:54]
	v_add_co_u32 v71, vcc_lo, v4, v34
	v_add_co_ci_u32_e32 v35, vcc_lo, v79, v35, vcc_lo
	v_sub_nc_u32_e32 v4, v76, v80
	v_sub_nc_u32_e32 v34, v77, v81
	v_add_co_u32 v77, vcc_lo, v71, v69
	v_fma_f64 v[10:11], v[10:11], v[47:48], -v[36:37]
	v_fma_f64 v[12:13], v[47:48], v[12:13], v[49:50]
	v_fma_f64 v[14:15], v[14:15], v[55:56], -v[67:68]
	v_fma_f64 v[16:17], v[55:56], v[16:17], v[57:58]
	v_add_co_ci_u32_e32 v79, vcc_lo, v35, v70, vcc_lo
	v_fma_f64 v[18:19], v[18:19], v[38:39], -v[73:74]
	v_fma_f64 v[20:21], v[38:39], v[20:21], v[40:41]
	v_mad_u64_u32 v[69:70], null, 0x51, v75, v[4:5]
	v_fma_f64 v[22:23], v[22:23], v[59:60], -v[30:31]
	v_fma_f64 v[24:25], v[59:60], v[24:25], v[32:33]
	v_fma_f64 v[28:29], v[51:52], v[28:29], v[61:62]
	v_fma_f64 v[26:27], v[26:27], v[51:52], -v[53:54]
	v_mov_b32_e32 v70, v5
	v_mad_u64_u32 v[30:31], null, 0x51, v78, v[34:35]
	v_mov_b32_e32 v31, v5
	v_add_co_u32 v38, vcc_lo, v77, v42
	v_lshlrev_b64 v[32:33], 4, v[69:70]
	v_add_co_ci_u32_e32 v39, vcc_lo, 0, v79, vcc_lo
	v_add_f64 v[40:41], v[8:9], v[12:13]
	v_add_f64 v[47:48], v[6:7], v[10:11]
	v_lshlrev_b64 v[34:35], 4, v[30:31]
	v_add_co_u32 v49, vcc_lo, v77, v32
	v_add_f64 v[53:54], v[14:15], v[18:19]
	v_add_f64 v[31:32], v[16:17], v[20:21]
	v_add_nc_u32_e32 v4, 27, v69
	v_add_co_ci_u32_e32 v50, vcc_lo, v79, v33, vcc_lo
	v_add_co_u32 v57, vcc_lo, v77, v34
	v_add_f64 v[51:52], v[24:25], v[28:29]
	v_add_f64 v[55:56], v[22:23], v[26:27]
	v_add_f64 v[33:34], v[6:7], -v[10:11]
	v_add_f64 v[61:62], v[8:9], v[2:3]
	v_add_f64 v[6:7], v[6:7], v[0:1]
	v_lshlrev_b64 v[36:37], 4, v[4:5]
	v_add_nc_u32_e32 v4, 54, v69
	v_add_f64 v[67:68], v[8:9], -v[12:13]
	v_add_f64 v[8:9], v[16:17], v[45:46]
	v_add_f64 v[69:70], v[14:15], v[43:44]
	v_fma_f64 v[40:41], v[40:41], -0.5, v[2:3]
	v_fma_f64 v[47:48], v[47:48], -0.5, v[0:1]
	v_add_f64 v[71:72], v[24:25], v[65:66]
	v_add_f64 v[73:74], v[22:23], v[63:64]
	v_add_f64 v[22:23], v[22:23], -v[26:27]
	v_add_f64 v[75:76], v[14:15], -v[18:19]
	v_fma_f64 v[45:46], v[31:32], -0.5, v[45:46]
	v_fma_f64 v[42:43], v[53:54], -0.5, v[43:44]
	v_lshlrev_b64 v[59:60], 4, v[4:5]
	v_add_nc_u32_e32 v4, 27, v30
	v_add_co_ci_u32_e32 v58, vcc_lo, v79, v35, vcc_lo
	v_fma_f64 v[31:32], v[51:52], -0.5, v[65:66]
	v_add_f64 v[51:52], v[24:25], -v[28:29]
	v_fma_f64 v[55:56], v[55:56], -0.5, v[63:64]
	v_add_f64 v[63:64], v[16:17], -v[20:21]
	v_add_f64 v[2:3], v[12:13], v[61:62]
	v_add_f64 v[0:1], v[10:11], v[6:7]
	v_lshlrev_b64 v[65:66], 4, v[4:5]
	v_add_nc_u32_e32 v4, 54, v30
	v_add_f64 v[8:9], v[20:21], v[8:9]
	v_add_f64 v[6:7], v[18:19], v[69:70]
	v_fma_f64 v[20:21], v[33:34], s[6:7], v[40:41]
	v_fma_f64 v[18:19], v[67:68], s[0:1], v[47:48]
	;; [unrolled: 1-line block ×4, first 2 shown]
	v_add_f64 v[12:13], v[28:29], v[71:72]
	v_add_f64 v[10:11], v[26:27], v[73:74]
	v_add_co_u32 v53, vcc_lo, v77, v36
	v_add_co_ci_u32_e32 v54, vcc_lo, v79, v37, vcc_lo
	v_fma_f64 v[36:37], v[75:76], s[6:7], v[45:46]
	v_fma_f64 v[24:25], v[75:76], s[0:1], v[45:46]
	;; [unrolled: 1-line block ×8, first 2 shown]
	v_add_co_u32 v40, vcc_lo, v77, v59
	v_lshlrev_b64 v[4:5], 4, v[4:5]
	v_add_co_ci_u32_e32 v41, vcc_lo, v79, v60, vcc_lo
	v_add_co_u32 v42, vcc_lo, v77, v65
	v_add_co_ci_u32_e32 v43, vcc_lo, v79, v66, vcc_lo
	v_add_co_u32 v4, vcc_lo, v77, v4
	v_add_co_ci_u32_e32 v5, vcc_lo, v79, v5, vcc_lo
	global_store_dwordx4 v[38:39], v[0:3], off
	global_store_dwordx4 v[38:39], v[18:21], off offset:432
	global_store_dwordx4 v[38:39], v[14:17], off offset:864
	global_store_dwordx4 v[49:50], v[10:13], off
	global_store_dwordx4 v[53:54], v[30:33], off
	;; [unrolled: 1-line block ×6, first 2 shown]
.LBB0_10:
	s_endpgm
	.section	.rodata,"a",@progbits
	.p2align	6, 0x0
	.amdhsa_kernel fft_rtc_fwd_len81_factors_9_3_3_wgs_189_tpt_9_dim3_dp_op_CI_CI_unitstride_sbrr_dirReg
		.amdhsa_group_segment_fixed_size 0
		.amdhsa_private_segment_fixed_size 0
		.amdhsa_kernarg_size 96
		.amdhsa_user_sgpr_count 6
		.amdhsa_user_sgpr_private_segment_buffer 1
		.amdhsa_user_sgpr_dispatch_ptr 0
		.amdhsa_user_sgpr_queue_ptr 0
		.amdhsa_user_sgpr_kernarg_segment_ptr 1
		.amdhsa_user_sgpr_dispatch_id 0
		.amdhsa_user_sgpr_flat_scratch_init 0
		.amdhsa_user_sgpr_private_segment_size 0
		.amdhsa_wavefront_size32 1
		.amdhsa_uses_dynamic_stack 0
		.amdhsa_system_sgpr_private_segment_wavefront_offset 0
		.amdhsa_system_sgpr_workgroup_id_x 1
		.amdhsa_system_sgpr_workgroup_id_y 0
		.amdhsa_system_sgpr_workgroup_id_z 0
		.amdhsa_system_sgpr_workgroup_info 0
		.amdhsa_system_vgpr_workitem_id 0
		.amdhsa_next_free_vgpr 83
		.amdhsa_next_free_sgpr 16
		.amdhsa_reserve_vcc 1
		.amdhsa_reserve_flat_scratch 0
		.amdhsa_float_round_mode_32 0
		.amdhsa_float_round_mode_16_64 0
		.amdhsa_float_denorm_mode_32 3
		.amdhsa_float_denorm_mode_16_64 3
		.amdhsa_dx10_clamp 1
		.amdhsa_ieee_mode 1
		.amdhsa_fp16_overflow 0
		.amdhsa_workgroup_processor_mode 1
		.amdhsa_memory_ordered 1
		.amdhsa_forward_progress 0
		.amdhsa_shared_vgpr_count 0
		.amdhsa_exception_fp_ieee_invalid_op 0
		.amdhsa_exception_fp_denorm_src 0
		.amdhsa_exception_fp_ieee_div_zero 0
		.amdhsa_exception_fp_ieee_overflow 0
		.amdhsa_exception_fp_ieee_underflow 0
		.amdhsa_exception_fp_ieee_inexact 0
		.amdhsa_exception_int_div_zero 0
	.end_amdhsa_kernel
	.text
.Lfunc_end0:
	.size	fft_rtc_fwd_len81_factors_9_3_3_wgs_189_tpt_9_dim3_dp_op_CI_CI_unitstride_sbrr_dirReg, .Lfunc_end0-fft_rtc_fwd_len81_factors_9_3_3_wgs_189_tpt_9_dim3_dp_op_CI_CI_unitstride_sbrr_dirReg
                                        ; -- End function
	.section	.AMDGPU.csdata,"",@progbits
; Kernel info:
; codeLenInByte = 4128
; NumSgprs: 18
; NumVgprs: 83
; ScratchSize: 0
; MemoryBound: 1
; FloatMode: 240
; IeeeMode: 1
; LDSByteSize: 0 bytes/workgroup (compile time only)
; SGPRBlocks: 2
; VGPRBlocks: 10
; NumSGPRsForWavesPerEU: 18
; NumVGPRsForWavesPerEU: 83
; Occupancy: 10
; WaveLimiterHint : 1
; COMPUTE_PGM_RSRC2:SCRATCH_EN: 0
; COMPUTE_PGM_RSRC2:USER_SGPR: 6
; COMPUTE_PGM_RSRC2:TRAP_HANDLER: 0
; COMPUTE_PGM_RSRC2:TGID_X_EN: 1
; COMPUTE_PGM_RSRC2:TGID_Y_EN: 0
; COMPUTE_PGM_RSRC2:TGID_Z_EN: 0
; COMPUTE_PGM_RSRC2:TIDIG_COMP_CNT: 0
	.text
	.p2alignl 6, 3214868480
	.fill 48, 4, 3214868480
	.type	__hip_cuid_8844fc2e30235868,@object ; @__hip_cuid_8844fc2e30235868
	.section	.bss,"aw",@nobits
	.globl	__hip_cuid_8844fc2e30235868
__hip_cuid_8844fc2e30235868:
	.byte	0                               ; 0x0
	.size	__hip_cuid_8844fc2e30235868, 1

	.ident	"AMD clang version 19.0.0git (https://github.com/RadeonOpenCompute/llvm-project roc-6.4.0 25133 c7fe45cf4b819c5991fe208aaa96edf142730f1d)"
	.section	".note.GNU-stack","",@progbits
	.addrsig
	.addrsig_sym __hip_cuid_8844fc2e30235868
	.amdgpu_metadata
---
amdhsa.kernels:
  - .args:
      - .actual_access:  read_only
        .address_space:  global
        .offset:         0
        .size:           8
        .value_kind:     global_buffer
      - .actual_access:  read_only
        .address_space:  global
        .offset:         8
        .size:           8
        .value_kind:     global_buffer
      - .actual_access:  read_only
        .address_space:  global
        .offset:         16
        .size:           8
        .value_kind:     global_buffer
      - .actual_access:  read_only
        .address_space:  global
        .offset:         24
        .size:           8
        .value_kind:     global_buffer
      - .offset:         32
        .size:           8
        .value_kind:     by_value
      - .actual_access:  read_only
        .address_space:  global
        .offset:         40
        .size:           8
        .value_kind:     global_buffer
      - .actual_access:  read_only
        .address_space:  global
        .offset:         48
        .size:           8
        .value_kind:     global_buffer
      - .offset:         56
        .size:           4
        .value_kind:     by_value
      - .actual_access:  read_only
        .address_space:  global
        .offset:         64
        .size:           8
        .value_kind:     global_buffer
      - .actual_access:  read_only
        .address_space:  global
        .offset:         72
        .size:           8
        .value_kind:     global_buffer
      - .actual_access:  read_only
        .address_space:  global
        .offset:         80
        .size:           8
        .value_kind:     global_buffer
      - .actual_access:  write_only
        .address_space:  global
        .offset:         88
        .size:           8
        .value_kind:     global_buffer
    .group_segment_fixed_size: 0
    .kernarg_segment_align: 8
    .kernarg_segment_size: 96
    .language:       OpenCL C
    .language_version:
      - 2
      - 0
    .max_flat_workgroup_size: 189
    .name:           fft_rtc_fwd_len81_factors_9_3_3_wgs_189_tpt_9_dim3_dp_op_CI_CI_unitstride_sbrr_dirReg
    .private_segment_fixed_size: 0
    .sgpr_count:     18
    .sgpr_spill_count: 0
    .symbol:         fft_rtc_fwd_len81_factors_9_3_3_wgs_189_tpt_9_dim3_dp_op_CI_CI_unitstride_sbrr_dirReg.kd
    .uniform_work_group_size: 1
    .uses_dynamic_stack: false
    .vgpr_count:     83
    .vgpr_spill_count: 0
    .wavefront_size: 32
    .workgroup_processor_mode: 1
amdhsa.target:   amdgcn-amd-amdhsa--gfx1030
amdhsa.version:
  - 1
  - 2
...

	.end_amdgpu_metadata
